;; amdgpu-corpus repo=ROCm/rocFFT kind=compiled arch=gfx906 opt=O3
	.text
	.amdgcn_target "amdgcn-amd-amdhsa--gfx906"
	.amdhsa_code_object_version 6
	.protected	fft_rtc_fwd_len2592_factors_6_6_6_6_2_wgs_216_tpt_216_halfLds_sp_op_CI_CI_sbrr_dirReg ; -- Begin function fft_rtc_fwd_len2592_factors_6_6_6_6_2_wgs_216_tpt_216_halfLds_sp_op_CI_CI_sbrr_dirReg
	.globl	fft_rtc_fwd_len2592_factors_6_6_6_6_2_wgs_216_tpt_216_halfLds_sp_op_CI_CI_sbrr_dirReg
	.p2align	8
	.type	fft_rtc_fwd_len2592_factors_6_6_6_6_2_wgs_216_tpt_216_halfLds_sp_op_CI_CI_sbrr_dirReg,@function
fft_rtc_fwd_len2592_factors_6_6_6_6_2_wgs_216_tpt_216_halfLds_sp_op_CI_CI_sbrr_dirReg: ; @fft_rtc_fwd_len2592_factors_6_6_6_6_2_wgs_216_tpt_216_halfLds_sp_op_CI_CI_sbrr_dirReg
; %bb.0:
	s_load_dwordx4 s[16:19], s[4:5], 0x18
	s_load_dwordx4 s[12:15], s[4:5], 0x0
	;; [unrolled: 1-line block ×3, first 2 shown]
	v_mul_u32_u24_e32 v1, 0x130, v0
	v_mov_b32_e32 v3, 0
	s_waitcnt lgkmcnt(0)
	s_load_dwordx2 s[20:21], s[16:17], 0x0
	s_load_dwordx2 s[2:3], s[18:19], 0x0
	v_cmp_lt_u64_e64 s[0:1], s[14:15], 2
	v_mov_b32_e32 v14, 0
	v_add_u32_sdwa v7, s6, v1 dst_sel:DWORD dst_unused:UNUSED_PAD src0_sel:DWORD src1_sel:WORD_1
	v_mov_b32_e32 v8, v3
	s_and_b64 vcc, exec, s[0:1]
	v_mov_b32_e32 v15, 0
	s_cbranch_vccnz .LBB0_8
; %bb.1:
	s_load_dwordx2 s[0:1], s[4:5], 0x10
	s_add_u32 s6, s18, 8
	s_addc_u32 s7, s19, 0
	s_add_u32 s22, s16, 8
	s_addc_u32 s23, s17, 0
	v_mov_b32_e32 v14, 0
	s_waitcnt lgkmcnt(0)
	s_add_u32 s24, s0, 8
	v_mov_b32_e32 v15, 0
	v_mov_b32_e32 v1, v14
	s_addc_u32 s25, s1, 0
	s_mov_b64 s[26:27], 1
	v_mov_b32_e32 v2, v15
.LBB0_2:                                ; =>This Inner Loop Header: Depth=1
	s_load_dwordx2 s[28:29], s[24:25], 0x0
                                        ; implicit-def: $vgpr5_vgpr6
	s_waitcnt lgkmcnt(0)
	v_or_b32_e32 v4, s29, v8
	v_cmp_ne_u64_e32 vcc, 0, v[3:4]
	s_and_saveexec_b64 s[0:1], vcc
	s_xor_b64 s[30:31], exec, s[0:1]
	s_cbranch_execz .LBB0_4
; %bb.3:                                ;   in Loop: Header=BB0_2 Depth=1
	v_cvt_f32_u32_e32 v4, s28
	v_cvt_f32_u32_e32 v5, s29
	s_sub_u32 s0, 0, s28
	s_subb_u32 s1, 0, s29
	v_mac_f32_e32 v4, 0x4f800000, v5
	v_rcp_f32_e32 v4, v4
	v_mul_f32_e32 v4, 0x5f7ffffc, v4
	v_mul_f32_e32 v5, 0x2f800000, v4
	v_trunc_f32_e32 v5, v5
	v_mac_f32_e32 v4, 0xcf800000, v5
	v_cvt_u32_f32_e32 v5, v5
	v_cvt_u32_f32_e32 v4, v4
	v_mul_lo_u32 v6, s0, v5
	v_mul_hi_u32 v9, s0, v4
	v_mul_lo_u32 v11, s1, v4
	v_mul_lo_u32 v10, s0, v4
	v_add_u32_e32 v6, v9, v6
	v_add_u32_e32 v6, v6, v11
	v_mul_hi_u32 v9, v4, v10
	v_mul_lo_u32 v11, v4, v6
	v_mul_hi_u32 v13, v4, v6
	v_mul_hi_u32 v12, v5, v10
	v_mul_lo_u32 v10, v5, v10
	v_mul_hi_u32 v16, v5, v6
	v_add_co_u32_e32 v9, vcc, v9, v11
	v_addc_co_u32_e32 v11, vcc, 0, v13, vcc
	v_mul_lo_u32 v6, v5, v6
	v_add_co_u32_e32 v9, vcc, v9, v10
	v_addc_co_u32_e32 v9, vcc, v11, v12, vcc
	v_addc_co_u32_e32 v10, vcc, 0, v16, vcc
	v_add_co_u32_e32 v6, vcc, v9, v6
	v_addc_co_u32_e32 v9, vcc, 0, v10, vcc
	v_add_co_u32_e32 v4, vcc, v4, v6
	v_addc_co_u32_e32 v5, vcc, v5, v9, vcc
	v_mul_lo_u32 v6, s0, v5
	v_mul_hi_u32 v9, s0, v4
	v_mul_lo_u32 v10, s1, v4
	v_mul_lo_u32 v11, s0, v4
	v_add_u32_e32 v6, v9, v6
	v_add_u32_e32 v6, v6, v10
	v_mul_lo_u32 v12, v4, v6
	v_mul_hi_u32 v13, v4, v11
	v_mul_hi_u32 v16, v4, v6
	;; [unrolled: 1-line block ×3, first 2 shown]
	v_mul_lo_u32 v11, v5, v11
	v_mul_hi_u32 v9, v5, v6
	v_add_co_u32_e32 v12, vcc, v13, v12
	v_addc_co_u32_e32 v13, vcc, 0, v16, vcc
	v_mul_lo_u32 v6, v5, v6
	v_add_co_u32_e32 v11, vcc, v12, v11
	v_addc_co_u32_e32 v10, vcc, v13, v10, vcc
	v_addc_co_u32_e32 v9, vcc, 0, v9, vcc
	v_add_co_u32_e32 v6, vcc, v10, v6
	v_addc_co_u32_e32 v9, vcc, 0, v9, vcc
	v_add_co_u32_e32 v6, vcc, v4, v6
	v_addc_co_u32_e32 v9, vcc, v5, v9, vcc
	v_mad_u64_u32 v[4:5], s[0:1], v7, v9, 0
	v_mul_hi_u32 v10, v7, v6
	v_add_co_u32_e32 v11, vcc, v10, v4
	v_addc_co_u32_e32 v12, vcc, 0, v5, vcc
	v_mad_u64_u32 v[4:5], s[0:1], v8, v6, 0
	v_mad_u64_u32 v[9:10], s[0:1], v8, v9, 0
	v_add_co_u32_e32 v4, vcc, v11, v4
	v_addc_co_u32_e32 v4, vcc, v12, v5, vcc
	v_addc_co_u32_e32 v5, vcc, 0, v10, vcc
	v_add_co_u32_e32 v9, vcc, v4, v9
	v_addc_co_u32_e32 v6, vcc, 0, v5, vcc
	v_mul_lo_u32 v10, s29, v9
	v_mul_lo_u32 v11, s28, v6
	v_mad_u64_u32 v[4:5], s[0:1], s28, v9, 0
	v_add3_u32 v5, v5, v11, v10
	v_sub_u32_e32 v10, v8, v5
	v_mov_b32_e32 v11, s29
	v_sub_co_u32_e32 v4, vcc, v7, v4
	v_subb_co_u32_e64 v10, s[0:1], v10, v11, vcc
	v_subrev_co_u32_e64 v11, s[0:1], s28, v4
	v_subbrev_co_u32_e64 v10, s[0:1], 0, v10, s[0:1]
	v_cmp_le_u32_e64 s[0:1], s29, v10
	v_cndmask_b32_e64 v12, 0, -1, s[0:1]
	v_cmp_le_u32_e64 s[0:1], s28, v11
	v_cndmask_b32_e64 v11, 0, -1, s[0:1]
	v_cmp_eq_u32_e64 s[0:1], s29, v10
	v_cndmask_b32_e64 v10, v12, v11, s[0:1]
	v_add_co_u32_e64 v11, s[0:1], 2, v9
	v_addc_co_u32_e64 v12, s[0:1], 0, v6, s[0:1]
	v_add_co_u32_e64 v13, s[0:1], 1, v9
	v_addc_co_u32_e64 v16, s[0:1], 0, v6, s[0:1]
	v_subb_co_u32_e32 v5, vcc, v8, v5, vcc
	v_cmp_ne_u32_e64 s[0:1], 0, v10
	v_cmp_le_u32_e32 vcc, s29, v5
	v_cndmask_b32_e64 v10, v16, v12, s[0:1]
	v_cndmask_b32_e64 v12, 0, -1, vcc
	v_cmp_le_u32_e32 vcc, s28, v4
	v_cndmask_b32_e64 v4, 0, -1, vcc
	v_cmp_eq_u32_e32 vcc, s29, v5
	v_cndmask_b32_e32 v4, v12, v4, vcc
	v_cmp_ne_u32_e32 vcc, 0, v4
	v_cndmask_b32_e64 v4, v13, v11, s[0:1]
	v_cndmask_b32_e32 v6, v6, v10, vcc
	v_cndmask_b32_e32 v5, v9, v4, vcc
.LBB0_4:                                ;   in Loop: Header=BB0_2 Depth=1
	s_andn2_saveexec_b64 s[0:1], s[30:31]
	s_cbranch_execz .LBB0_6
; %bb.5:                                ;   in Loop: Header=BB0_2 Depth=1
	v_cvt_f32_u32_e32 v4, s28
	s_sub_i32 s30, 0, s28
	v_rcp_iflag_f32_e32 v4, v4
	v_mul_f32_e32 v4, 0x4f7ffffe, v4
	v_cvt_u32_f32_e32 v4, v4
	v_mul_lo_u32 v5, s30, v4
	v_mul_hi_u32 v5, v4, v5
	v_add_u32_e32 v4, v4, v5
	v_mul_hi_u32 v4, v7, v4
	v_mul_lo_u32 v5, v4, s28
	v_add_u32_e32 v6, 1, v4
	v_sub_u32_e32 v5, v7, v5
	v_subrev_u32_e32 v9, s28, v5
	v_cmp_le_u32_e32 vcc, s28, v5
	v_cndmask_b32_e32 v5, v5, v9, vcc
	v_cndmask_b32_e32 v4, v4, v6, vcc
	v_add_u32_e32 v6, 1, v4
	v_cmp_le_u32_e32 vcc, s28, v5
	v_cndmask_b32_e32 v5, v4, v6, vcc
	v_mov_b32_e32 v6, v3
.LBB0_6:                                ;   in Loop: Header=BB0_2 Depth=1
	s_or_b64 exec, exec, s[0:1]
	v_mul_lo_u32 v4, v6, s28
	v_mul_lo_u32 v11, v5, s29
	v_mad_u64_u32 v[9:10], s[0:1], v5, s28, 0
	s_load_dwordx2 s[0:1], s[22:23], 0x0
	s_load_dwordx2 s[28:29], s[6:7], 0x0
	v_add3_u32 v4, v10, v11, v4
	v_sub_co_u32_e32 v7, vcc, v7, v9
	v_subb_co_u32_e32 v4, vcc, v8, v4, vcc
	s_waitcnt lgkmcnt(0)
	v_mul_lo_u32 v8, s0, v4
	v_mul_lo_u32 v9, s1, v7
	v_mad_u64_u32 v[14:15], s[0:1], s0, v7, v[14:15]
	s_add_u32 s26, s26, 1
	s_addc_u32 s27, s27, 0
	s_add_u32 s6, s6, 8
	v_mul_lo_u32 v4, s28, v4
	v_mul_lo_u32 v10, s29, v7
	v_mad_u64_u32 v[1:2], s[0:1], s28, v7, v[1:2]
	v_add3_u32 v15, v9, v15, v8
	s_addc_u32 s7, s7, 0
	v_mov_b32_e32 v7, s14
	s_add_u32 s22, s22, 8
	v_mov_b32_e32 v8, s15
	s_addc_u32 s23, s23, 0
	v_cmp_ge_u64_e32 vcc, s[26:27], v[7:8]
	s_add_u32 s24, s24, 8
	v_add3_u32 v2, v10, v2, v4
	s_addc_u32 s25, s25, 0
	s_cbranch_vccnz .LBB0_9
; %bb.7:                                ;   in Loop: Header=BB0_2 Depth=1
	v_mov_b32_e32 v8, v6
	v_mov_b32_e32 v7, v5
	s_branch .LBB0_2
.LBB0_8:
	v_mov_b32_e32 v1, v14
	v_mov_b32_e32 v5, v7
	;; [unrolled: 1-line block ×4, first 2 shown]
.LBB0_9:
	s_load_dwordx2 s[0:1], s[4:5], 0x28
	s_lshl_b64 s[14:15], s[14:15], 3
	s_add_u32 s4, s18, s14
	s_addc_u32 s5, s19, s15
                                        ; implicit-def: $vgpr3
                                        ; implicit-def: $vgpr9
                                        ; implicit-def: $vgpr7
                                        ; implicit-def: $vgpr10
                                        ; implicit-def: $vgpr13
                                        ; implicit-def: $vgpr11
	s_waitcnt lgkmcnt(0)
	v_cmp_gt_u64_e32 vcc, s[0:1], v[5:6]
	v_cmp_le_u64_e64 s[0:1], s[0:1], v[5:6]
	s_and_saveexec_b64 s[6:7], s[0:1]
	s_xor_b64 s[0:1], exec, s[6:7]
; %bb.10:
	s_mov_b32 s6, 0x12f684c
	v_mul_hi_u32 v3, v0, s6
                                        ; implicit-def: $vgpr14_vgpr15
	v_mul_u32_u24_e32 v3, 0xd8, v3
	v_sub_u32_e32 v3, v0, v3
	v_add_u32_e32 v9, 0xd8, v3
	v_add_u32_e32 v7, 0x1b0, v3
	;; [unrolled: 1-line block ×5, first 2 shown]
                                        ; implicit-def: $vgpr0
; %bb.11:
	s_or_saveexec_b64 s[6:7], s[0:1]
                                        ; implicit-def: $vgpr18
                                        ; implicit-def: $vgpr28
                                        ; implicit-def: $vgpr30
                                        ; implicit-def: $vgpr16
                                        ; implicit-def: $vgpr22
                                        ; implicit-def: $vgpr24
                                        ; implicit-def: $vgpr26
                                        ; implicit-def: $vgpr36
                                        ; implicit-def: $vgpr20
                                        ; implicit-def: $vgpr34
                                        ; implicit-def: $vgpr38
                                        ; implicit-def: $vgpr32
	s_xor_b64 exec, exec, s[6:7]
	s_cbranch_execz .LBB0_13
; %bb.12:
	s_add_u32 s0, s16, s14
	s_mov_b32 s14, 0x12f684c
	v_mul_hi_u32 v3, v0, s14
	s_addc_u32 s1, s17, s15
	s_load_dwordx2 s[0:1], s[0:1], 0x0
	v_mul_u32_u24_e32 v3, 0xd8, v3
	v_sub_u32_e32 v3, v0, v3
	v_mad_u64_u32 v[8:9], s[14:15], s20, v3, 0
	s_waitcnt lgkmcnt(0)
	v_mul_lo_u32 v4, s1, v5
	v_mul_lo_u32 v7, s0, v6
	v_mad_u64_u32 v[10:11], s[0:1], s0, v5, 0
	v_mov_b32_e32 v0, v9
	v_mad_u64_u32 v[12:13], s[0:1], s21, v3, v[0:1]
	v_add3_u32 v11, v11, v7, v4
	v_lshlrev_b64 v[10:11], 3, v[10:11]
	v_mov_b32_e32 v0, s9
	v_add_co_u32_e64 v4, s[0:1], s8, v10
	v_add_u32_e32 v7, 0x1b0, v3
	v_mov_b32_e32 v9, v12
	v_addc_co_u32_e64 v0, s[0:1], v0, v11, s[0:1]
	v_mad_u64_u32 v[12:13], s[0:1], s20, v7, 0
	v_lshlrev_b64 v[10:11], 3, v[14:15]
	v_lshlrev_b64 v[8:9], 3, v[8:9]
	v_add_co_u32_e64 v4, s[0:1], v4, v10
	v_addc_co_u32_e64 v22, s[0:1], v0, v11, s[0:1]
	v_mov_b32_e32 v0, v13
	v_mad_u64_u32 v[13:14], s[0:1], s21, v7, v[0:1]
	v_add_u32_e32 v10, 0x360, v3
	v_mad_u64_u32 v[14:15], s[0:1], s20, v10, 0
	v_add_co_u32_e64 v39, s[0:1], v4, v8
	v_mov_b32_e32 v0, v15
	v_addc_co_u32_e64 v40, s[0:1], v22, v9, s[0:1]
	v_lshlrev_b64 v[8:9], 3, v[12:13]
	v_mad_u64_u32 v[11:12], s[0:1], s21, v10, v[0:1]
	v_add_u32_e32 v16, 0x510, v3
	v_mad_u64_u32 v[12:13], s[0:1], s20, v16, 0
	v_add_co_u32_e64 v41, s[0:1], v4, v8
	v_mov_b32_e32 v15, v11
	v_mov_b32_e32 v0, v13
	v_addc_co_u32_e64 v42, s[0:1], v22, v9, s[0:1]
	v_lshlrev_b64 v[8:9], 3, v[14:15]
	v_mad_u64_u32 v[13:14], s[0:1], s21, v16, v[0:1]
	v_add_u32_e32 v11, 0x6c0, v3
	v_mad_u64_u32 v[14:15], s[0:1], s20, v11, 0
	v_add_co_u32_e64 v43, s[0:1], v4, v8
	v_mov_b32_e32 v0, v15
	v_addc_co_u32_e64 v44, s[0:1], v22, v9, s[0:1]
	v_lshlrev_b64 v[8:9], 3, v[12:13]
	v_mad_u64_u32 v[11:12], s[0:1], s21, v11, v[0:1]
	v_add_u32_e32 v16, 0x870, v3
	v_mad_u64_u32 v[12:13], s[0:1], s20, v16, 0
	v_add_co_u32_e64 v45, s[0:1], v4, v8
	v_mov_b32_e32 v0, v13
	v_addc_co_u32_e64 v46, s[0:1], v22, v9, s[0:1]
	v_mad_u64_u32 v[8:9], s[0:1], s21, v16, v[0:1]
	v_add_u32_e32 v9, 0xd8, v3
	v_mad_u64_u32 v[16:17], s[0:1], s20, v9, 0
	v_mov_b32_e32 v15, v11
	v_lshlrev_b64 v[14:15], 3, v[14:15]
	v_mov_b32_e32 v13, v8
	v_add_co_u32_e64 v47, s[0:1], v4, v14
	v_lshlrev_b64 v[11:12], 3, v[12:13]
	v_mov_b32_e32 v0, v17
	v_add_u32_e32 v13, 0x288, v3
	v_addc_co_u32_e64 v48, s[0:1], v22, v15, s[0:1]
	v_mad_u64_u32 v[14:15], s[0:1], s21, v9, v[0:1]
	v_mad_u64_u32 v[18:19], s[0:1], s20, v13, 0
	v_add_co_u32_e64 v49, s[0:1], v4, v11
	v_add_u32_e32 v11, 0x438, v3
	v_addc_co_u32_e64 v50, s[0:1], v22, v12, s[0:1]
	v_mov_b32_e32 v17, v14
	v_mov_b32_e32 v0, v19
	v_mad_u64_u32 v[20:21], s[0:1], s20, v11, 0
	v_lshlrev_b64 v[14:15], 3, v[16:17]
	v_mad_u64_u32 v[16:17], s[0:1], s21, v13, v[0:1]
	v_add_co_u32_e64 v51, s[0:1], v4, v14
	v_mov_b32_e32 v0, v21
	v_addc_co_u32_e64 v52, s[0:1], v22, v15, s[0:1]
	v_mov_b32_e32 v19, v16
	v_mad_u64_u32 v[16:17], s[0:1], s21, v11, v[0:1]
	v_add_u32_e32 v8, 0x5e8, v3
	v_lshlrev_b64 v[14:15], 3, v[18:19]
	v_mad_u64_u32 v[17:18], s[0:1], s20, v8, 0
	v_add_co_u32_e64 v53, s[0:1], v4, v14
	v_mov_b32_e32 v0, v18
	v_addc_co_u32_e64 v54, s[0:1], v22, v15, s[0:1]
	v_mov_b32_e32 v21, v16
	v_mad_u64_u32 v[18:19], s[0:1], s21, v8, v[0:1]
	v_add_u32_e32 v8, 0x798, v3
	v_lshlrev_b64 v[14:15], 3, v[20:21]
	v_mad_u64_u32 v[19:20], s[0:1], s20, v8, 0
	v_add_co_u32_e64 v55, s[0:1], v4, v14
	v_mov_b32_e32 v0, v20
	v_addc_co_u32_e64 v56, s[0:1], v22, v15, s[0:1]
	v_lshlrev_b64 v[14:15], 3, v[17:18]
	v_mad_u64_u32 v[16:17], s[0:1], s21, v8, v[0:1]
	v_add_u32_e32 v8, 0x948, v3
	v_mad_u64_u32 v[17:18], s[0:1], s20, v8, 0
	v_add_co_u32_e64 v57, s[0:1], v4, v14
	v_mov_b32_e32 v20, v16
	v_mov_b32_e32 v0, v18
	v_addc_co_u32_e64 v58, s[0:1], v22, v15, s[0:1]
	v_lshlrev_b64 v[14:15], 3, v[19:20]
	v_mad_u64_u32 v[18:19], s[0:1], s21, v8, v[0:1]
	v_add_co_u32_e64 v59, s[0:1], v4, v14
	v_addc_co_u32_e64 v60, s[0:1], v22, v15, s[0:1]
	v_lshlrev_b64 v[14:15], 3, v[17:18]
	v_add_co_u32_e64 v61, s[0:1], v4, v14
	v_addc_co_u32_e64 v62, s[0:1], v22, v15, s[0:1]
	global_load_dwordx2 v[17:18], v[39:40], off
	global_load_dwordx2 v[31:32], v[41:42], off
	;; [unrolled: 1-line block ×12, first 2 shown]
.LBB0_13:
	s_or_b64 exec, exec, s[6:7]
	s_waitcnt vmcnt(7)
	v_add_f32_e32 v4, v27, v29
	v_add_f32_e32 v0, v17, v27
	v_fmac_f32_e32 v17, -0.5, v4
	v_sub_f32_e32 v4, v28, v30
	v_mov_b32_e32 v8, v17
	s_waitcnt vmcnt(6)
	v_add_f32_e32 v12, v33, v37
	v_fmac_f32_e32 v8, 0x3f5db3d7, v4
	v_fmac_f32_e32 v17, 0xbf5db3d7, v4
	v_add_f32_e32 v4, v37, v31
	v_fmac_f32_e32 v31, -0.5, v12
	v_sub_f32_e32 v12, v38, v34
	v_mov_b32_e32 v14, v31
	v_fmac_f32_e32 v14, 0x3f5db3d7, v12
	v_fmac_f32_e32 v31, 0xbf5db3d7, v12
	v_add_f32_e32 v12, v38, v32
	v_add_f32_e32 v38, v34, v38
	v_fmac_f32_e32 v32, -0.5, v38
	v_sub_f32_e32 v37, v37, v33
	v_mov_b32_e32 v41, v32
	v_fmac_f32_e32 v41, 0xbf5db3d7, v37
	v_fmac_f32_e32 v32, 0x3f5db3d7, v37
	v_add_f32_e32 v0, v0, v29
	v_add_f32_e32 v4, v33, v4
	v_mul_f32_e32 v33, 0.5, v14
	v_mul_f32_e32 v42, -0.5, v31
	v_fmac_f32_e32 v33, 0x3f5db3d7, v41
	v_add_f32_e32 v37, v0, v4
	v_fmac_f32_e32 v42, 0x3f5db3d7, v32
	v_sub_f32_e32 v40, v0, v4
	v_mul_u32_u24_e32 v0, 6, v3
	s_waitcnt vmcnt(1)
	v_add_f32_e32 v4, v21, v23
	v_add_f32_e32 v38, v8, v33
	;; [unrolled: 1-line block ×3, first 2 shown]
	v_lshl_add_u32 v43, v0, 2, 0
	v_add_f32_e32 v0, v15, v21
	v_fmac_f32_e32 v15, -0.5, v4
	ds_write2_b64 v43, v[37:38], v[39:40] offset1:1
	v_sub_f32_e32 v37, v8, v33
	v_sub_f32_e32 v38, v17, v42
	;; [unrolled: 1-line block ×3, first 2 shown]
	v_mov_b32_e32 v8, v15
	s_waitcnt vmcnt(0)
	v_add_f32_e32 v17, v25, v35
	v_fmac_f32_e32 v8, 0x3f5db3d7, v4
	v_fmac_f32_e32 v15, 0xbf5db3d7, v4
	v_add_f32_e32 v4, v35, v19
	v_fmac_f32_e32 v19, -0.5, v17
	v_sub_f32_e32 v17, v36, v26
	v_mov_b32_e32 v39, v19
	v_fmac_f32_e32 v39, 0x3f5db3d7, v17
	v_fmac_f32_e32 v19, 0xbf5db3d7, v17
	v_add_f32_e32 v17, v26, v36
	v_add_f32_e32 v0, v0, v23
	;; [unrolled: 1-line block ×3, first 2 shown]
	ds_write_b64 v43, v[37:38] offset:16
	v_add_f32_e32 v40, v36, v20
	v_fmac_f32_e32 v20, -0.5, v17
	v_sub_f32_e32 v17, v35, v25
	v_add_f32_e32 v35, v0, v4
	v_sub_f32_e32 v38, v0, v4
	v_add_f32_e32 v4, v18, v28
	v_add_f32_e32 v28, v28, v30
	v_mov_b32_e32 v42, v20
	v_fmac_f32_e32 v18, -0.5, v28
	v_fmac_f32_e32 v42, 0xbf5db3d7, v17
	v_fmac_f32_e32 v20, 0x3f5db3d7, v17
	v_mul_f32_e32 v17, 0.5, v39
	v_mul_f32_e32 v25, -0.5, v19
	v_mul_i32_i24_e32 v0, 6, v9
	v_sub_f32_e32 v27, v27, v29
	v_mul_f32_e32 v44, -0.5, v32
	v_mov_b32_e32 v45, v18
	v_mul_f32_e32 v46, 0xbf5db3d7, v14
	v_fmac_f32_e32 v17, 0x3f5db3d7, v42
	v_fmac_f32_e32 v25, 0x3f5db3d7, v20
	v_lshl_add_u32 v0, v0, 2, 0
	v_add_f32_e32 v4, v4, v30
	v_add_f32_e32 v12, v34, v12
	v_fmac_f32_e32 v44, 0xbf5db3d7, v31
	v_fmac_f32_e32 v45, 0xbf5db3d7, v27
	;; [unrolled: 1-line block ×3, first 2 shown]
	v_fmac_f32_e32 v46, 0.5, v41
	s_load_dwordx2 s[0:1], s[4:5], 0x0
	s_movk_i32 s4, 0xffec
	v_add_f32_e32 v36, v8, v17
	v_add_f32_e32 v37, v15, v25
	v_sub_f32_e32 v14, v8, v17
	v_sub_f32_e32 v15, v15, v25
	v_add_f32_e32 v29, v4, v12
	v_sub_f32_e32 v32, v4, v12
	v_add_f32_e32 v31, v18, v44
	v_mad_i32_i24 v25, v3, s4, v43
	v_mad_i32_i24 v4, v9, s4, v0
	v_sub_f32_e32 v18, v18, v44
	v_sub_f32_e32 v17, v45, v46
	ds_write2_b64 v0, v[35:36], v[37:38] offset1:1
	ds_write_b64 v0, v[14:15] offset:16
	s_waitcnt lgkmcnt(0)
	s_barrier
	v_lshl_add_u32 v27, v7, 2, 0
	v_lshl_add_u32 v28, v10, 2, 0
	v_add_u32_e32 v14, 0x1080, v25
	v_add_u32_e32 v12, 0x1780, v25
	;; [unrolled: 1-line block ×3, first 2 shown]
	ds_read_b32 v41, v4
	ds_read_b32 v47, v25
	ds_read_b32 v48, v25 offset:2592
	ds_read_b32 v49, v28
	ds_read_b32 v50, v27
	ds_read_b32 v51, v25 offset:9504
	ds_read2_b32 v[33:34], v14 offset0:24 offset1:240
	ds_read2_b32 v[35:36], v12 offset0:8 offset1:224
	;; [unrolled: 1-line block ×3, first 2 shown]
	s_waitcnt lgkmcnt(0)
	s_barrier
	ds_write_b64 v43, v[17:18] offset:16
	v_add_f32_e32 v17, v22, v24
	v_add_f32_e32 v15, v16, v22
	v_fmac_f32_e32 v16, -0.5, v17
	v_sub_f32_e32 v18, v21, v23
	v_add_f32_e32 v15, v15, v24
	v_mul_f32_e32 v22, -0.5, v20
	v_mov_b32_e32 v23, v16
	v_mul_f32_e32 v24, 0xbf5db3d7, v39
	v_add_f32_e32 v21, v26, v40
	v_fmac_f32_e32 v22, 0xbf5db3d7, v19
	v_fmac_f32_e32 v23, 0xbf5db3d7, v18
	;; [unrolled: 1-line block ×3, first 2 shown]
	v_fmac_f32_e32 v24, 0.5, v42
	v_add_f32_e32 v30, v45, v46
	v_add_f32_e32 v17, v15, v21
	v_sub_f32_e32 v20, v15, v21
	v_add_f32_e32 v19, v16, v22
	v_sub_f32_e32 v16, v16, v22
	v_sub_f32_e32 v15, v23, v24
	s_movk_i32 s4, 0xab
	ds_write2_b64 v43, v[29:30], v[31:32] offset1:1
	ds_write_b64 v0, v[15:16] offset:16
	v_mul_lo_u16_sdwa v15, v3, s4 dst_sel:DWORD dst_unused:UNUSED_PAD src0_sel:BYTE_0 src1_sel:DWORD
	v_lshrrev_b16_e32 v26, 10, v15
	v_mul_lo_u16_e32 v15, 6, v26
	v_sub_u16_e32 v42, v3, v15
	v_mov_b32_e32 v43, 5
	v_mul_u32_u24_sdwa v15, v42, v43 dst_sel:DWORD dst_unused:UNUSED_PAD src0_sel:BYTE_0 src1_sel:DWORD
	v_add_f32_e32 v18, v23, v24
	v_lshlrev_b32_e32 v39, 3, v15
	ds_write2_b64 v0, v[17:18], v[19:20] offset1:1
	s_waitcnt lgkmcnt(0)
	s_barrier
	global_load_dwordx4 v[15:18], v39, s[12:13]
	s_mov_b32 s4, 0xaaab
	v_mul_u32_u24_sdwa v19, v9, s4 dst_sel:DWORD dst_unused:UNUSED_PAD src0_sel:WORD_0 src1_sel:DWORD
	v_lshrrev_b32_e32 v44, 18, v19
	v_mul_lo_u16_e32 v19, 6, v44
	v_sub_u16_e32 v45, v9, v19
	v_mul_u32_u24_e32 v19, 5, v45
	v_lshlrev_b32_e32 v46, 3, v19
	global_load_dwordx4 v[19:22], v46, s[12:13]
	global_load_dwordx4 v[29:32], v39, s[12:13] offset:16
	ds_read_b32 v23, v27
	ds_read_b32 v52, v25 offset:2592
	ds_read_b32 v24, v28
	ds_read_b32 v53, v4
	ds_read_b32 v54, v25 offset:9504
	v_mul_u32_u24_e32 v26, 0x90, v26
	ds_read_b32 v57, v25
	s_mov_b32 s4, 0xe38f
	s_waitcnt vmcnt(2) lgkmcnt(5)
	v_mul_f32_e32 v40, v23, v16
	v_fma_f32 v55, v50, v15, -v40
	v_mul_f32_e32 v50, v50, v16
	v_fmac_f32_e32 v50, v23, v15
	s_waitcnt lgkmcnt(3)
	v_mul_f32_e32 v15, v24, v18
	v_fma_f32 v56, v49, v17, -v15
	v_mul_f32_e32 v49, v49, v18
	v_fmac_f32_e32 v49, v24, v17
	ds_read2_b32 v[23:24], v14 offset0:24 offset1:240
	s_waitcnt vmcnt(1)
	v_mul_f32_e32 v15, v52, v20
	v_fma_f32 v58, v48, v19, -v15
	v_mul_f32_e32 v48, v48, v20
	v_fmac_f32_e32 v48, v52, v19
	s_waitcnt lgkmcnt(0)
	v_mul_f32_e32 v15, v23, v22
	s_waitcnt vmcnt(0)
	v_mul_f32_e32 v19, v24, v30
	v_fma_f32 v52, v33, v21, -v15
	v_mul_f32_e32 v59, v33, v22
	v_fma_f32 v33, v34, v29, -v19
	ds_read2_b32 v[19:20], v12 offset0:8 offset1:224
	global_load_dwordx2 v[39:40], v39, s[12:13] offset:32
	v_mul_f32_e32 v30, v34, v30
	global_load_dwordx4 v[15:18], v46, s[12:13] offset:16
	v_fmac_f32_e32 v59, v23, v21
	v_fmac_f32_e32 v30, v24, v29
	s_waitcnt lgkmcnt(0)
	v_mul_f32_e32 v21, v20, v32
	v_mul_f32_e32 v29, v36, v32
	v_fma_f32 v24, v36, v31, -v21
	v_fmac_f32_e32 v29, v20, v31
	global_load_dwordx2 v[20:21], v46, s[12:13] offset:32
	ds_read2_b32 v[22:23], v8 offset0:24 offset1:240
	v_mov_b32_e32 v46, 2
	s_waitcnt vmcnt(0) lgkmcnt(0)
	s_barrier
	v_mul_f32_e32 v31, v19, v16
	v_mul_f32_e32 v16, v35, v16
	v_fma_f32 v31, v35, v15, -v31
	v_fmac_f32_e32 v16, v19, v15
	v_mul_f32_e32 v15, v22, v18
	v_mul_f32_e32 v18, v37, v18
	v_fma_f32 v15, v37, v17, -v15
	v_fmac_f32_e32 v18, v22, v17
	;; [unrolled: 4-line block ×3, first 2 shown]
	v_mul_f32_e32 v22, v54, v21
	v_mul_f32_e32 v21, v51, v21
	v_add_f32_e32 v23, v56, v24
	v_add_f32_e32 v32, v33, v17
	v_add_f32_e32 v34, v30, v19
	v_fma_f32 v22, v51, v20, -v22
	v_fmac_f32_e32 v21, v54, v20
	v_add_f32_e32 v20, v47, v56
	v_fmac_f32_e32 v47, -0.5, v23
	v_add_f32_e32 v23, v55, v33
	v_fmac_f32_e32 v55, -0.5, v32
	v_add_f32_e32 v32, v50, v30
	v_fmac_f32_e32 v50, -0.5, v34
	v_sub_f32_e32 v30, v30, v19
	v_add_f32_e32 v23, v23, v17
	v_sub_f32_e32 v17, v33, v17
	v_lshlrev_b32_sdwa v33, v46, v42 dst_sel:DWORD dst_unused:UNUSED_PAD src0_sel:DWORD src1_sel:BYTE_0
	v_add_f32_e32 v20, v20, v24
	v_mov_b32_e32 v35, v55
	v_mov_b32_e32 v36, v50
	v_fmac_f32_e32 v55, 0xbf5db3d7, v30
	v_add3_u32 v26, 0, v26, v33
	v_sub_f32_e32 v33, v49, v29
	v_fmac_f32_e32 v36, 0xbf5db3d7, v17
	v_add_f32_e32 v38, v20, v23
	v_fmac_f32_e32 v50, 0x3f5db3d7, v17
	v_sub_f32_e32 v17, v20, v23
	v_mul_f32_e32 v20, -0.5, v55
	v_mov_b32_e32 v34, v47
	v_fmac_f32_e32 v35, 0x3f5db3d7, v30
	v_mul_f32_e32 v37, 0x3f5db3d7, v36
	v_fmac_f32_e32 v47, 0xbf5db3d7, v33
	v_fmac_f32_e32 v20, 0x3f5db3d7, v50
	;; [unrolled: 1-line block ×3, first 2 shown]
	v_fmac_f32_e32 v37, 0.5, v35
	v_add_f32_e32 v23, v47, v20
	ds_write2_b32 v26, v23, v17 offset0:12 offset1:18
	v_sub_f32_e32 v17, v34, v37
	v_sub_f32_e32 v20, v47, v20
	ds_write2_b32 v26, v17, v20 offset0:24 offset1:30
	v_add_f32_e32 v20, v52, v15
	v_add_f32_e32 v23, v31, v22
	;; [unrolled: 1-line block ×3, first 2 shown]
	v_fmac_f32_e32 v41, -0.5, v20
	v_add_f32_e32 v20, v58, v31
	v_fmac_f32_e32 v58, -0.5, v23
	v_add_f32_e32 v23, v16, v21
	v_add_f32_e32 v39, v34, v37
	;; [unrolled: 1-line block ×3, first 2 shown]
	v_fmac_f32_e32 v48, -0.5, v23
	v_sub_f32_e32 v16, v16, v21
	ds_write2_b32 v26, v38, v39 offset1:6
	v_add_f32_e32 v20, v20, v22
	v_sub_f32_e32 v22, v31, v22
	v_mul_u32_u24_e32 v23, 0x90, v44
	v_lshlrev_b32_e32 v31, 2, v45
	v_add_f32_e32 v17, v17, v15
	v_mov_b32_e32 v37, v58
	v_mov_b32_e32 v38, v48
	v_fmac_f32_e32 v58, 0xbf5db3d7, v16
	v_add3_u32 v31, 0, v23, v31
	v_sub_f32_e32 v23, v59, v18
	v_fmac_f32_e32 v37, 0x3f5db3d7, v16
	v_fmac_f32_e32 v38, 0xbf5db3d7, v22
	v_add_f32_e32 v39, v17, v20
	v_fmac_f32_e32 v48, 0x3f5db3d7, v22
	v_sub_f32_e32 v16, v17, v20
	v_mul_f32_e32 v17, -0.5, v58
	v_mov_b32_e32 v33, v41
	v_mul_f32_e32 v34, 0x3f5db3d7, v38
	v_fmac_f32_e32 v41, 0xbf5db3d7, v23
	v_fmac_f32_e32 v17, 0x3f5db3d7, v48
	v_fmac_f32_e32 v33, 0x3f5db3d7, v23
	v_fmac_f32_e32 v34, 0.5, v37
	v_add_f32_e32 v20, v41, v17
	ds_write2_b32 v31, v20, v16 offset0:12 offset1:18
	v_sub_f32_e32 v16, v33, v34
	v_sub_f32_e32 v17, v41, v17
	ds_write2_b32 v31, v16, v17 offset0:24 offset1:30
	v_add_f32_e32 v17, v49, v29
	v_add_f32_e32 v16, v57, v49
	v_fmac_f32_e32 v57, -0.5, v17
	v_sub_f32_e32 v17, v56, v24
	v_mov_b32_e32 v22, v57
	v_fmac_f32_e32 v22, 0xbf5db3d7, v17
	v_fmac_f32_e32 v57, 0x3f5db3d7, v17
	v_mul_f32_e32 v17, -0.5, v50
	v_add_f32_e32 v16, v16, v29
	v_add_f32_e32 v19, v32, v19
	v_mul_f32_e32 v20, 0xbf5db3d7, v35
	v_fmac_f32_e32 v17, 0xbf5db3d7, v55
	v_add_f32_e32 v40, v33, v34
	v_fmac_f32_e32 v20, 0.5, v36
	v_add_f32_e32 v29, v16, v19
	v_sub_f32_e32 v16, v16, v19
	v_add_f32_e32 v19, v57, v17
	ds_write2_b32 v31, v39, v40 offset1:6
	s_waitcnt lgkmcnt(0)
	s_barrier
	ds_read_b32 v41, v4
	ds_read_b32 v42, v25
	ds_read_b32 v44, v25 offset:2592
	ds_read_b32 v39, v28
	ds_read_b32 v40, v27
	ds_read_b32 v45, v25 offset:9504
	ds_read2_b32 v[23:24], v14 offset0:24 offset1:240
	ds_read2_b32 v[33:34], v12 offset0:8 offset1:224
	;; [unrolled: 1-line block ×3, first 2 shown]
	s_waitcnt lgkmcnt(0)
	s_barrier
	ds_write2_b32 v26, v19, v16 offset0:12 offset1:18
	v_sub_f32_e32 v16, v22, v20
	v_sub_f32_e32 v17, v57, v17
	ds_write2_b32 v26, v16, v17 offset0:24 offset1:30
	v_add_f32_e32 v17, v59, v18
	v_add_f32_e32 v16, v53, v59
	v_fmac_f32_e32 v53, -0.5, v17
	v_sub_f32_e32 v15, v52, v15
	v_mov_b32_e32 v19, v53
	v_fmac_f32_e32 v19, 0xbf5db3d7, v15
	v_fmac_f32_e32 v53, 0x3f5db3d7, v15
	v_mul_f32_e32 v15, -0.5, v48
	v_add_f32_e32 v16, v16, v18
	v_add_f32_e32 v17, v30, v21
	v_mul_f32_e32 v18, 0xbf5db3d7, v37
	v_fmac_f32_e32 v15, 0xbf5db3d7, v58
	v_add_f32_e32 v32, v22, v20
	v_fmac_f32_e32 v18, 0.5, v38
	v_add_f32_e32 v20, v16, v17
	v_sub_f32_e32 v16, v16, v17
	v_add_f32_e32 v17, v53, v15
	ds_write2_b32 v26, v29, v32 offset1:6
	ds_write2_b32 v31, v17, v16 offset0:12 offset1:18
	v_sub_f32_e32 v16, v19, v18
	v_sub_f32_e32 v15, v53, v15
	ds_write2_b32 v31, v16, v15 offset0:24 offset1:30
	v_mov_b32_e32 v15, 57
	v_mul_lo_u16_sdwa v15, v3, v15 dst_sel:DWORD dst_unused:UNUSED_PAD src0_sel:BYTE_0 src1_sel:DWORD
	v_lshrrev_b16_e32 v26, 11, v15
	v_mul_lo_u16_e32 v15, 36, v26
	v_sub_u16_e32 v47, v3, v15
	v_mul_u32_u24_sdwa v15, v47, v43 dst_sel:DWORD dst_unused:UNUSED_PAD src0_sel:BYTE_0 src1_sel:DWORD
	v_add_f32_e32 v21, v19, v18
	v_lshlrev_b32_e32 v43, 3, v15
	v_mul_u32_u24_sdwa v19, v9, s4 dst_sel:DWORD dst_unused:UNUSED_PAD src0_sel:WORD_0 src1_sel:DWORD
	ds_write2_b32 v31, v20, v21 offset1:6
	s_waitcnt lgkmcnt(0)
	s_barrier
	global_load_dwordx4 v[15:18], v43, s[12:13] offset:240
	v_lshrrev_b32_e32 v48, 21, v19
	v_mul_lo_u16_e32 v19, 36, v48
	v_sub_u16_e32 v49, v9, v19
	v_mul_u32_u24_e32 v19, 5, v49
	v_lshlrev_b32_e32 v50, 3, v19
	global_load_dwordx4 v[19:22], v50, s[12:13] offset:240
	global_load_dwordx4 v[29:32], v43, s[12:13] offset:256
	ds_read_b32 v37, v27
	ds_read_b32 v51, v25 offset:2592
	ds_read_b32 v38, v28
	ds_read_b32 v52, v4
	ds_read_b32 v53, v25 offset:9504
	v_mul_u32_u24_e32 v26, 0x360, v26
	s_waitcnt vmcnt(2) lgkmcnt(4)
	v_mul_f32_e32 v54, v37, v16
	v_mul_f32_e32 v55, v40, v16
	;; [unrolled: 1-line block ×3, first 2 shown]
	v_fma_f32 v54, v40, v15, -v54
	v_fmac_f32_e32 v55, v37, v15
	s_waitcnt lgkmcnt(2)
	v_mul_f32_e32 v15, v38, v18
	v_fmac_f32_e32 v57, v38, v17
	ds_read2_b32 v[37:38], v14 offset0:24 offset1:240
	v_fma_f32 v56, v39, v17, -v15
	s_waitcnt vmcnt(1)
	v_mul_f32_e32 v15, v51, v20
	v_fma_f32 v58, v44, v19, -v15
	v_mul_f32_e32 v44, v44, v20
	v_fmac_f32_e32 v44, v51, v19
	v_mul_f32_e32 v59, v23, v22
	s_waitcnt vmcnt(0) lgkmcnt(0)
	v_mul_f32_e32 v19, v38, v30
	v_mul_f32_e32 v15, v37, v22
	v_fmac_f32_e32 v59, v37, v21
	v_fma_f32 v37, v24, v29, -v19
	ds_read2_b32 v[19:20], v12 offset0:8 offset1:224
	global_load_dwordx2 v[39:40], v43, s[12:13] offset:272
	v_fma_f32 v51, v23, v21, -v15
	global_load_dwordx4 v[15:18], v50, s[12:13] offset:256
	v_mul_f32_e32 v24, v24, v30
	s_waitcnt lgkmcnt(0)
	v_mul_f32_e32 v21, v20, v32
	v_mul_f32_e32 v30, v34, v32
	v_fmac_f32_e32 v24, v38, v29
	v_fma_f32 v29, v34, v31, -v21
	v_fmac_f32_e32 v30, v20, v31
	global_load_dwordx2 v[20:21], v50, s[12:13] offset:272
	ds_read2_b32 v[22:23], v8 offset0:24 offset1:240
	ds_read_b32 v43, v25
	s_waitcnt vmcnt(0) lgkmcnt(0)
	s_barrier
	v_mul_f32_e32 v31, v19, v16
	v_mul_f32_e32 v16, v33, v16
	v_fma_f32 v31, v33, v15, -v31
	v_fmac_f32_e32 v16, v19, v15
	v_mul_f32_e32 v15, v22, v18
	v_mul_f32_e32 v18, v35, v18
	v_fma_f32 v15, v35, v17, -v15
	v_fmac_f32_e32 v18, v22, v17
	;; [unrolled: 4-line block ×3, first 2 shown]
	v_mul_f32_e32 v22, v53, v21
	v_mul_f32_e32 v21, v45, v21
	v_add_f32_e32 v23, v56, v29
	v_add_f32_e32 v32, v37, v17
	;; [unrolled: 1-line block ×3, first 2 shown]
	v_fma_f32 v22, v45, v20, -v22
	v_fmac_f32_e32 v21, v53, v20
	v_add_f32_e32 v20, v42, v56
	v_fmac_f32_e32 v42, -0.5, v23
	v_add_f32_e32 v23, v54, v37
	v_fmac_f32_e32 v54, -0.5, v32
	;; [unrolled: 2-line block ×3, first 2 shown]
	v_sub_f32_e32 v24, v24, v19
	v_add_f32_e32 v23, v23, v17
	v_sub_f32_e32 v17, v37, v17
	v_lshlrev_b32_sdwa v33, v46, v47 dst_sel:DWORD dst_unused:UNUSED_PAD src0_sel:DWORD src1_sel:BYTE_0
	v_add_f32_e32 v20, v20, v29
	v_mov_b32_e32 v35, v54
	v_mov_b32_e32 v36, v55
	v_fmac_f32_e32 v54, 0xbf5db3d7, v24
	v_add3_u32 v26, 0, v26, v33
	v_sub_f32_e32 v33, v57, v30
	v_fmac_f32_e32 v36, 0xbf5db3d7, v17
	v_add_f32_e32 v38, v20, v23
	v_fmac_f32_e32 v55, 0x3f5db3d7, v17
	v_sub_f32_e32 v17, v20, v23
	v_mul_f32_e32 v20, -0.5, v54
	v_mov_b32_e32 v34, v42
	v_fmac_f32_e32 v35, 0x3f5db3d7, v24
	v_mul_f32_e32 v37, 0x3f5db3d7, v36
	v_fmac_f32_e32 v42, 0xbf5db3d7, v33
	v_fmac_f32_e32 v20, 0x3f5db3d7, v55
	;; [unrolled: 1-line block ×3, first 2 shown]
	v_fmac_f32_e32 v37, 0.5, v35
	v_add_f32_e32 v23, v42, v20
	ds_write2_b32 v26, v23, v17 offset0:72 offset1:108
	v_sub_f32_e32 v17, v34, v37
	v_sub_f32_e32 v20, v42, v20
	ds_write2_b32 v26, v17, v20 offset0:144 offset1:180
	v_add_f32_e32 v20, v51, v15
	v_add_f32_e32 v23, v31, v22
	;; [unrolled: 1-line block ×3, first 2 shown]
	v_fmac_f32_e32 v41, -0.5, v20
	v_add_f32_e32 v20, v58, v31
	v_fmac_f32_e32 v58, -0.5, v23
	v_add_f32_e32 v23, v16, v21
	v_add_f32_e32 v39, v34, v37
	;; [unrolled: 1-line block ×3, first 2 shown]
	v_fmac_f32_e32 v44, -0.5, v23
	v_sub_f32_e32 v16, v16, v21
	ds_write2_b32 v26, v38, v39 offset1:36
	v_add_f32_e32 v20, v20, v22
	v_sub_f32_e32 v22, v31, v22
	v_mul_u32_u24_e32 v23, 0x360, v48
	v_lshlrev_b32_e32 v24, 2, v49
	v_add_f32_e32 v17, v17, v15
	v_mov_b32_e32 v37, v58
	v_mov_b32_e32 v38, v44
	v_fmac_f32_e32 v58, 0xbf5db3d7, v16
	v_add3_u32 v34, 0, v23, v24
	v_sub_f32_e32 v23, v59, v18
	v_fmac_f32_e32 v37, 0x3f5db3d7, v16
	v_fmac_f32_e32 v38, 0xbf5db3d7, v22
	v_add_f32_e32 v39, v17, v20
	v_fmac_f32_e32 v44, 0x3f5db3d7, v22
	v_sub_f32_e32 v16, v17, v20
	v_mul_f32_e32 v17, -0.5, v58
	v_mov_b32_e32 v24, v41
	v_mul_f32_e32 v31, 0x3f5db3d7, v38
	v_fmac_f32_e32 v41, 0xbf5db3d7, v23
	v_fmac_f32_e32 v17, 0x3f5db3d7, v44
	v_fmac_f32_e32 v24, 0x3f5db3d7, v23
	v_fmac_f32_e32 v31, 0.5, v37
	v_add_f32_e32 v20, v41, v17
	ds_write2_b32 v34, v20, v16 offset0:72 offset1:108
	v_sub_f32_e32 v16, v24, v31
	v_sub_f32_e32 v17, v41, v17
	ds_write2_b32 v34, v16, v17 offset0:144 offset1:180
	v_add_f32_e32 v17, v57, v30
	v_add_f32_e32 v16, v43, v57
	v_fmac_f32_e32 v43, -0.5, v17
	v_sub_f32_e32 v17, v56, v29
	v_mov_b32_e32 v22, v43
	v_fmac_f32_e32 v22, 0xbf5db3d7, v17
	v_fmac_f32_e32 v43, 0x3f5db3d7, v17
	v_mul_f32_e32 v17, -0.5, v55
	v_add_f32_e32 v16, v16, v30
	v_add_f32_e32 v19, v32, v19
	v_mul_f32_e32 v20, 0xbf5db3d7, v35
	v_fmac_f32_e32 v17, 0xbf5db3d7, v54
	v_add_f32_e32 v40, v24, v31
	v_fmac_f32_e32 v20, 0.5, v36
	v_add_f32_e32 v45, v16, v19
	v_sub_f32_e32 v16, v16, v19
	v_add_f32_e32 v19, v43, v17
	ds_write2_b32 v34, v39, v40 offset1:36
	s_waitcnt lgkmcnt(0)
	s_barrier
	ds_read_b32 v39, v4
	ds_read_b32 v40, v25
	ds_read_b32 v41, v25 offset:2592
	ds_read_b32 v35, v28
	ds_read_b32 v36, v27
	ds_read_b32 v42, v25 offset:9504
	ds_read2_b32 v[23:24], v14 offset0:24 offset1:240
	ds_read2_b32 v[29:30], v12 offset0:8 offset1:224
	ds_read2_b32 v[31:32], v8 offset0:24 offset1:240
	s_waitcnt lgkmcnt(0)
	s_barrier
	ds_write2_b32 v26, v19, v16 offset0:72 offset1:108
	v_sub_f32_e32 v16, v22, v20
	v_sub_f32_e32 v17, v43, v17
	ds_write2_b32 v26, v16, v17 offset0:144 offset1:180
	v_add_f32_e32 v17, v59, v18
	v_add_f32_e32 v16, v52, v59
	v_fmac_f32_e32 v52, -0.5, v17
	v_sub_f32_e32 v15, v51, v15
	v_mov_b32_e32 v19, v52
	v_fmac_f32_e32 v19, 0xbf5db3d7, v15
	v_fmac_f32_e32 v52, 0x3f5db3d7, v15
	v_mul_f32_e32 v15, -0.5, v44
	v_add_f32_e32 v16, v16, v18
	v_add_f32_e32 v17, v33, v21
	v_mul_f32_e32 v18, 0xbf5db3d7, v37
	v_fmac_f32_e32 v15, 0xbf5db3d7, v58
	v_add_f32_e32 v46, v22, v20
	v_fmac_f32_e32 v18, 0.5, v38
	v_add_f32_e32 v20, v16, v17
	v_sub_f32_e32 v16, v16, v17
	v_add_f32_e32 v17, v52, v15
	ds_write2_b32 v26, v45, v46 offset1:36
	ds_write2_b32 v34, v17, v16 offset0:72 offset1:108
	v_sub_f32_e32 v16, v19, v18
	v_sub_f32_e32 v15, v52, v15
	ds_write2_b32 v34, v16, v15 offset0:144 offset1:180
	v_mul_u32_u24_e32 v15, 5, v3
	v_add_f32_e32 v21, v19, v18
	v_lshlrev_b32_e32 v26, 3, v15
	ds_write2_b32 v34, v20, v21 offset1:36
	s_waitcnt lgkmcnt(0)
	s_barrier
	global_load_dwordx4 v[15:18], v26, s[12:13] offset:1680
	global_load_dwordx4 v[19:22], v26, s[12:13] offset:1696
	global_load_dwordx2 v[33:34], v26, s[12:13] offset:1712
	ds_read_b32 v26, v27
	ds_read_b32 v37, v28
	ds_read_b32 v38, v4
	ds_read_b32 v43, v25 offset:9504
	v_add_u32_e32 v51, 0x680, v25
	s_waitcnt vmcnt(2)
	v_mul_f32_e32 v45, v36, v16
	s_waitcnt lgkmcnt(3)
	v_mul_f32_e32 v44, v26, v16
	v_fmac_f32_e32 v45, v26, v15
	s_waitcnt lgkmcnt(2)
	v_mul_f32_e32 v26, v37, v18
	v_fma_f32 v46, v35, v17, -v26
	ds_read_b32 v26, v25 offset:2592
	v_mul_f32_e32 v47, v35, v18
	v_fma_f32 v44, v36, v15, -v44
	v_fmac_f32_e32 v47, v37, v17
	ds_read2_b32 v[35:36], v14 offset0:24 offset1:240
	ds_read_b32 v37, v25
	s_waitcnt lgkmcnt(2)
	v_mul_f32_e32 v14, v26, v16
	v_fma_f32 v48, v41, v15, -v14
	v_mul_f32_e32 v41, v41, v16
	s_waitcnt lgkmcnt(1)
	v_mul_f32_e32 v14, v35, v18
	v_fmac_f32_e32 v41, v26, v15
	v_fma_f32 v49, v23, v17, -v14
	ds_read2_b32 v[14:15], v12 offset0:8 offset1:224
	v_mul_f32_e32 v50, v23, v18
	s_waitcnt vmcnt(1)
	v_mul_f32_e32 v12, v36, v20
	v_fmac_f32_e32 v50, v35, v17
	v_fma_f32 v12, v24, v19, -v12
	s_waitcnt lgkmcnt(0)
	v_mul_f32_e32 v16, v15, v22
	v_fma_f32 v23, v30, v21, -v16
	v_mul_f32_e32 v16, v14, v20
	v_mul_f32_e32 v18, v24, v20
	v_fma_f32 v24, v29, v19, -v16
	ds_read2_b32 v[16:17], v8 offset0:24 offset1:240
	v_mul_f32_e32 v8, v30, v22
	v_mul_f32_e32 v20, v29, v20
	v_fmac_f32_e32 v8, v15, v21
	v_mul_f32_e32 v35, v31, v22
	s_waitcnt vmcnt(0) lgkmcnt(0)
	v_mul_f32_e32 v15, v17, v34
	v_fmac_f32_e32 v20, v14, v19
	v_mul_f32_e32 v14, v16, v22
	v_fmac_f32_e32 v35, v16, v21
	v_fma_f32 v15, v32, v33, -v15
	v_mul_f32_e32 v16, v32, v34
	v_fmac_f32_e32 v18, v36, v19
	v_fma_f32 v14, v31, v21, -v14
	v_fmac_f32_e32 v16, v17, v33
	v_add_f32_e32 v21, v46, v23
	v_add_f32_e32 v22, v12, v15
	;; [unrolled: 1-line block ×3, first 2 shown]
	v_fmac_f32_e32 v40, -0.5, v21
	v_add_f32_e32 v21, v44, v12
	v_fmac_f32_e32 v44, -0.5, v22
	v_add_f32_e32 v22, v18, v16
	v_mul_f32_e32 v17, v43, v34
	v_mul_f32_e32 v36, v42, v34
	v_add_f32_e32 v29, v45, v18
	v_fmac_f32_e32 v45, -0.5, v22
	v_sub_f32_e32 v18, v18, v16
	v_fma_f32 v17, v42, v33, -v17
	v_fmac_f32_e32 v36, v43, v33
	v_add_f32_e32 v21, v21, v15
	v_sub_f32_e32 v12, v12, v15
	v_add_f32_e32 v15, v19, v23
	v_mov_b32_e32 v42, v44
	v_mov_b32_e32 v43, v45
	v_fmac_f32_e32 v44, 0xbf5db3d7, v18
	v_sub_f32_e32 v19, v47, v8
	v_fmac_f32_e32 v43, 0xbf5db3d7, v12
	v_add_f32_e32 v30, v15, v21
	v_fmac_f32_e32 v45, 0x3f5db3d7, v12
	v_sub_f32_e32 v12, v15, v21
	v_mul_f32_e32 v15, -0.5, v44
	v_mov_b32_e32 v22, v40
	v_fmac_f32_e32 v42, 0x3f5db3d7, v18
	v_mul_f32_e32 v26, 0x3f5db3d7, v43
	v_fmac_f32_e32 v40, 0xbf5db3d7, v19
	v_fmac_f32_e32 v15, 0x3f5db3d7, v45
	;; [unrolled: 1-line block ×3, first 2 shown]
	v_fmac_f32_e32 v26, 0.5, v42
	v_add_f32_e32 v18, v40, v15
	s_barrier
	ds_write2_b32 v51, v18, v12 offset0:16 offset1:232
	v_sub_f32_e32 v12, v22, v26
	v_sub_f32_e32 v15, v40, v15
	v_add_u32_e32 v40, 0xd00, v25
	ds_write2_b32 v40, v12, v15 offset0:32 offset1:248
	v_add_f32_e32 v15, v49, v14
	v_add_f32_e32 v18, v24, v17
	;; [unrolled: 1-line block ×3, first 2 shown]
	v_fmac_f32_e32 v39, -0.5, v15
	v_add_f32_e32 v15, v48, v24
	v_fmac_f32_e32 v48, -0.5, v18
	v_add_f32_e32 v18, v20, v36
	v_add_f32_e32 v52, v41, v20
	v_fmac_f32_e32 v41, -0.5, v18
	v_add_f32_e32 v15, v15, v17
	v_sub_f32_e32 v17, v24, v17
	v_mov_b32_e32 v54, v41
	v_sub_f32_e32 v20, v20, v36
	v_mov_b32_e32 v53, v48
	v_fmac_f32_e32 v54, 0xbf5db3d7, v17
	v_add_f32_e32 v12, v12, v14
	v_sub_f32_e32 v18, v50, v35
	v_mov_b32_e32 v19, v39
	v_fmac_f32_e32 v53, 0x3f5db3d7, v20
	v_mul_f32_e32 v21, 0x3f5db3d7, v54
	v_fmac_f32_e32 v48, 0xbf5db3d7, v20
	v_fmac_f32_e32 v19, 0x3f5db3d7, v18
	v_fmac_f32_e32 v21, 0.5, v53
	v_add_f32_e32 v24, v12, v15
	v_fmac_f32_e32 v41, 0x3f5db3d7, v17
	v_sub_f32_e32 v12, v12, v15
	v_mul_f32_e32 v15, -0.5, v48
	v_add_f32_e32 v31, v22, v26
	v_add_f32_e32 v26, v19, v21
	v_add_u32_e32 v22, 0x1400, v25
	v_fmac_f32_e32 v39, 0xbf5db3d7, v18
	v_fmac_f32_e32 v15, 0x3f5db3d7, v41
	ds_write2_b32 v22, v24, v26 offset0:16 offset1:232
	v_add_f32_e32 v17, v39, v15
	v_add_u32_e32 v26, 0x1b00, v25
	ds_write2_b32 v25, v30, v31 offset1:216
	ds_write2_b32 v26, v17, v12 offset1:216
	v_sub_f32_e32 v12, v19, v21
	v_sub_f32_e32 v15, v39, v15
	v_add_u32_e32 v30, 0x2180, v25
	ds_write2_b32 v30, v12, v15 offset0:16 offset1:232
	v_add_f32_e32 v12, v37, v47
	v_add_f32_e32 v12, v12, v8
	;; [unrolled: 1-line block ×3, first 2 shown]
	v_fmac_f32_e32 v37, -0.5, v8
	v_sub_f32_e32 v8, v46, v23
	v_mul_f32_e32 v45, -0.5, v45
	v_add_f32_e32 v39, v29, v16
	v_fmac_f32_e32 v45, 0xbf5db3d7, v44
	v_mov_b32_e32 v44, v37
	v_fmac_f32_e32 v37, 0x3f5db3d7, v8
	s_waitcnt lgkmcnt(0)
	s_barrier
	ds_read_b32 v21, v25
	ds_read_b32 v24, v27
	v_lshl_add_u32 v33, v13, 2, 0
	v_lshl_add_u32 v34, v11, 2, 0
	ds_read_b32 v23, v4
	ds_read_b32 v32, v34
	;; [unrolled: 1-line block ×4, first 2 shown]
	ds_read2_b32 v[15:16], v22 offset0:16 offset1:232
	ds_read2_b32 v[17:18], v26 offset1:216
	ds_read2_b32 v[19:20], v30 offset0:16 offset1:232
	v_add_f32_e32 v4, v37, v45
	v_sub_f32_e32 v46, v12, v39
	s_waitcnt lgkmcnt(0)
	s_barrier
	ds_write2_b32 v51, v4, v46 offset0:16 offset1:232
	v_mul_f32_e32 v4, 0xbf5db3d7, v42
	v_fmac_f32_e32 v44, 0xbf5db3d7, v8
	v_fmac_f32_e32 v4, 0.5, v43
	v_sub_f32_e32 v8, v37, v45
	v_sub_f32_e32 v37, v44, v4
	ds_write2_b32 v40, v37, v8 offset0:32 offset1:248
	v_add_f32_e32 v8, v12, v39
	v_add_f32_e32 v4, v44, v4
	ds_write2_b32 v25, v8, v4 offset1:216
	v_add_f32_e32 v8, v50, v35
	v_add_f32_e32 v4, v38, v50
	v_fmac_f32_e32 v38, -0.5, v8
	v_add_f32_e32 v4, v4, v35
	v_sub_f32_e32 v8, v49, v14
	v_mov_b32_e32 v35, v38
	v_fmac_f32_e32 v35, 0xbf5db3d7, v8
	v_fmac_f32_e32 v38, 0x3f5db3d7, v8
	v_mul_f32_e32 v8, -0.5, v41
	v_add_f32_e32 v12, v52, v36
	v_mul_f32_e32 v14, 0xbf5db3d7, v53
	v_fmac_f32_e32 v8, 0xbf5db3d7, v48
	v_fmac_f32_e32 v14, 0.5, v54
	v_add_f32_e32 v36, v4, v12
	v_sub_f32_e32 v4, v4, v12
	v_add_f32_e32 v12, v38, v8
	v_add_f32_e32 v37, v35, v14
	ds_write2_b32 v26, v12, v4 offset1:216
	v_sub_f32_e32 v4, v35, v14
	v_sub_f32_e32 v8, v38, v8
	ds_write2_b32 v22, v36, v37 offset0:16 offset1:232
	ds_write2_b32 v30, v4, v8 offset0:16 offset1:232
	s_waitcnt lgkmcnt(0)
	s_barrier
	s_and_saveexec_b64 s[4:5], vcc
	s_cbranch_execz .LBB0_15
; %bb.14:
	v_mov_b32_e32 v12, 0
	v_lshlrev_b64 v[35:36], 3, v[11:12]
	v_mov_b32_e32 v41, s13
	v_add_co_u32_e32 v4, vcc, s12, v35
	v_addc_co_u32_e32 v8, vcc, v41, v36, vcc
	v_mov_b32_e32 v11, v12
	v_add_co_u32_e32 v35, vcc, 0x2000, v4
	v_lshlrev_b64 v[10:11], 3, v[10:11]
	v_addc_co_u32_e32 v36, vcc, 0, v8, vcc
	v_add_co_u32_e32 v4, vcc, s12, v10
	s_movk_i32 s4, 0x2000
	global_load_dwordx2 v[35:36], v[35:36], off offset:2128
	v_addc_co_u32_e32 v8, vcc, v41, v11, vcc
	v_add_co_u32_e32 v10, vcc, s4, v4
	v_addc_co_u32_e32 v11, vcc, 0, v8, vcc
	global_load_dwordx2 v[37:38], v[10:11], off offset:2128
	v_mov_b32_e32 v14, v12
	v_lshlrev_b64 v[10:11], 3, v[13:14]
	v_mul_lo_u32 v6, s0, v6
	v_add_co_u32_e32 v4, vcc, s12, v10
	v_addc_co_u32_e32 v8, vcc, v41, v11, vcc
	v_add_co_u32_e32 v10, vcc, s4, v4
	v_addc_co_u32_e32 v11, vcc, 0, v8, vcc
	v_mov_b32_e32 v8, v12
	v_lshlrev_b64 v[7:8], 3, v[7:8]
	global_load_dwordx2 v[13:14], v[10:11], off offset:2128
	v_add_co_u32_e32 v4, vcc, s12, v7
	v_addc_co_u32_e32 v8, vcc, v41, v8, vcc
	v_add_co_u32_e32 v7, vcc, s4, v4
	v_addc_co_u32_e32 v8, vcc, 0, v8, vcc
	global_load_dwordx2 v[7:8], v[7:8], off offset:2128
	v_mov_b32_e32 v10, v12
	v_lshlrev_b64 v[10:11], 3, v[9:10]
	v_add_co_u32_e32 v4, vcc, s12, v10
	v_addc_co_u32_e32 v11, vcc, v41, v11, vcc
	v_add_co_u32_e32 v10, vcc, s4, v4
	v_addc_co_u32_e32 v11, vcc, 0, v11, vcc
	global_load_dwordx2 v[10:11], v[10:11], off offset:2128
	v_mov_b32_e32 v4, v12
	v_lshlrev_b64 v[39:40], 3, v[3:4]
	v_add_co_u32_e32 v4, vcc, s12, v39
	v_addc_co_u32_e32 v12, vcc, v41, v40, vcc
	v_add_co_u32_e32 v39, vcc, s4, v4
	v_addc_co_u32_e32 v40, vcc, 0, v12, vcc
	global_load_dwordx2 v[39:40], v[39:40], off offset:2128
	v_mul_i32_i24_e32 v12, 0xffffffec, v9
	v_mul_lo_u32 v9, s1, v5
	v_mad_u64_u32 v[4:5], s[0:1], s0, v5, 0
	ds_read2_b32 v[41:42], v30 offset0:16 offset1:232
	ds_read_b32 v30, v34
	ds_read_b32 v43, v33
	v_add_u32_e32 v0, v0, v12
	v_add3_u32 v5, v5, v6, v9
	s_mov_b32 s0, 0xca4587e7
	v_lshlrev_b64 v[4:5], 3, v[4:5]
	s_movk_i32 s1, 0xa20
	v_add_co_u32_e32 v4, vcc, s10, v4
	s_waitcnt vmcnt(5)
	v_mul_f32_e32 v6, v20, v36
	s_waitcnt lgkmcnt(2)
	v_fmac_f32_e32 v6, v42, v35
	s_waitcnt lgkmcnt(1)
	v_sub_f32_e32 v34, v30, v6
	ds_read_b32 v6, v28
	v_mul_f32_e32 v9, v42, v36
	v_fma_f32 v9, v20, v35, -v9
	ds_read_b32 v28, v27
	s_waitcnt vmcnt(4)
	v_mul_f32_e32 v44, v19, v38
	v_fmac_f32_e32 v44, v41, v37
	s_waitcnt lgkmcnt(1)
	v_sub_f32_e32 v20, v6, v44
	v_fma_f32 v27, v6, 2.0, -v20
	v_mul_f32_e32 v6, v41, v38
	ds_read2_b32 v[41:42], v26 offset1:216
	v_fma_f32 v6, v19, v37, -v6
	v_sub_f32_e32 v19, v31, v6
	v_fma_f32 v26, v31, 2.0, -v19
	v_fma_f32 v36, v30, 2.0, -v34
	v_sub_f32_e32 v33, v32, v9
	v_fma_f32 v35, v32, 2.0, -v33
	s_waitcnt vmcnt(3)
	v_mul_f32_e32 v6, v18, v14
	s_waitcnt lgkmcnt(0)
	v_fmac_f32_e32 v6, v42, v13
	v_sub_f32_e32 v31, v43, v6
	v_mul_f32_e32 v6, v42, v14
	v_fma_f32 v6, v18, v13, -v6
	v_sub_f32_e32 v30, v29, v6
	ds_read_b32 v14, v25
	v_fma_f32 v37, v29, 2.0, -v30
	v_fma_f32 v38, v43, 2.0, -v31
	s_waitcnt vmcnt(2)
	v_mul_f32_e32 v6, v17, v8
	v_fmac_f32_e32 v6, v41, v7
	v_sub_f32_e32 v9, v28, v6
	v_mul_f32_e32 v6, v41, v8
	v_fma_f32 v8, v17, v7, -v6
	ds_read2_b32 v[6:7], v22 offset0:16 offset1:232
	ds_read_b32 v0, v0
	v_sub_f32_e32 v8, v24, v8
	v_fma_f32 v12, v24, 2.0, -v8
	v_fma_f32 v13, v28, 2.0, -v9
	s_waitcnt vmcnt(1)
	v_mul_f32_e32 v17, v16, v11
	s_waitcnt lgkmcnt(1)
	v_fmac_f32_e32 v17, v7, v10
	s_waitcnt lgkmcnt(0)
	v_sub_f32_e32 v17, v0, v17
	v_fma_f32 v24, v0, 2.0, -v17
	v_mul_f32_e32 v0, v7, v11
	v_fma_f32 v0, v16, v10, -v0
	v_sub_f32_e32 v16, v23, v0
	v_mul_hi_u32 v0, v3, s0
	v_fma_f32 v23, v23, 2.0, -v16
	v_lshrrev_b32_e32 v0, 10, v0
	v_mul_u32_u24_e32 v0, 0x510, v0
	v_sub_u32_e32 v18, v3, v0
	v_mad_u64_u32 v[10:11], s[4:5], s2, v18, 0
	s_waitcnt vmcnt(0)
	v_mul_f32_e32 v7, v15, v40
	v_fmac_f32_e32 v7, v6, v39
	v_mul_f32_e32 v6, v6, v40
	v_mov_b32_e32 v0, v11
	v_mad_u64_u32 v[28:29], s[4:5], s3, v18, v[0:1]
	v_fma_f32 v0, v15, v39, -v6
	v_sub_f32_e32 v6, v21, v0
	v_mov_b32_e32 v0, s11
	v_addc_co_u32_e32 v5, vcc, v0, v5, vcc
	v_lshlrev_b64 v[0:1], 3, v[1:2]
	v_mov_b32_e32 v11, v28
	v_add_co_u32_e32 v25, vcc, v4, v0
	v_sub_f32_e32 v7, v14, v7
	v_addc_co_u32_e32 v28, vcc, v5, v1, vcc
	v_lshlrev_b64 v[0:1], 3, v[10:11]
	v_add_u32_e32 v10, 0x510, v18
	v_fma_f32 v22, v14, 2.0, -v7
	v_mad_u64_u32 v[4:5], s[4:5], s2, v10, 0
	v_add_u32_e32 v14, 0xd8, v3
	v_mul_hi_u32 v15, v14, s0
	v_mov_b32_e32 v2, v5
	v_mad_u64_u32 v[10:11], s[4:5], s3, v10, v[2:3]
	v_lshrrev_b32_e32 v2, 10, v15
	v_mul_u32_u24_e32 v5, 0x510, v2
	v_sub_u32_e32 v5, v14, v5
	v_mad_u32_u24 v11, v2, s1, v5
	v_mad_u64_u32 v[14:15], s[4:5], s2, v11, 0
	v_add_co_u32_e32 v0, vcc, v25, v0
	v_fma_f32 v21, v21, 2.0, -v6
	v_addc_co_u32_e32 v1, vcc, v28, v1, vcc
	v_mov_b32_e32 v5, v10
	global_store_dwordx2 v[0:1], v[21:22], off
	v_lshlrev_b64 v[0:1], 3, v[4:5]
	v_mov_b32_e32 v2, v15
	v_mad_u64_u32 v[4:5], s[4:5], s3, v11, v[2:3]
	v_add_co_u32_e32 v0, vcc, v25, v0
	v_addc_co_u32_e32 v1, vcc, v28, v1, vcc
	global_store_dwordx2 v[0:1], v[6:7], off
	v_add_u32_e32 v6, 0x510, v11
	v_mov_b32_e32 v15, v4
	v_mad_u64_u32 v[4:5], s[4:5], s2, v6, 0
	v_add_u32_e32 v7, 0x1b0, v3
	v_mul_hi_u32 v10, v7, s0
	v_mov_b32_e32 v2, v5
	v_mad_u64_u32 v[5:6], s[4:5], s3, v6, v[2:3]
	v_lshrrev_b32_e32 v2, 10, v10
	v_mul_u32_u24_e32 v6, 0x510, v2
	v_sub_u32_e32 v6, v7, v6
	v_mad_u32_u24 v10, v2, s1, v6
	v_mad_u64_u32 v[6:7], s[4:5], s2, v10, 0
	v_lshlrev_b64 v[0:1], 3, v[14:15]
	v_add_co_u32_e32 v0, vcc, v25, v0
	v_addc_co_u32_e32 v1, vcc, v28, v1, vcc
	v_mov_b32_e32 v2, v7
	global_store_dwordx2 v[0:1], v[23:24], off
	v_lshlrev_b64 v[0:1], 3, v[4:5]
	v_mad_u64_u32 v[4:5], s[4:5], s3, v10, v[2:3]
	v_add_co_u32_e32 v0, vcc, v25, v0
	v_addc_co_u32_e32 v1, vcc, v28, v1, vcc
	v_mov_b32_e32 v7, v4
	global_store_dwordx2 v[0:1], v[16:17], off
	v_lshlrev_b64 v[0:1], 3, v[6:7]
	v_add_u32_e32 v6, 0x510, v10
	v_mad_u64_u32 v[4:5], s[4:5], s2, v6, 0
	v_add_u32_e32 v7, 0x288, v3
	v_mul_hi_u32 v10, v7, s0
	v_mov_b32_e32 v2, v5
	v_mad_u64_u32 v[5:6], s[4:5], s3, v6, v[2:3]
	v_lshrrev_b32_e32 v2, 10, v10
	v_mul_u32_u24_e32 v6, 0x510, v2
	v_sub_u32_e32 v6, v7, v6
	v_mad_u32_u24 v10, v2, s1, v6
	v_mad_u64_u32 v[6:7], s[4:5], s2, v10, 0
	v_add_co_u32_e32 v0, vcc, v25, v0
	v_addc_co_u32_e32 v1, vcc, v28, v1, vcc
	v_mov_b32_e32 v2, v7
	global_store_dwordx2 v[0:1], v[12:13], off
	v_lshlrev_b64 v[0:1], 3, v[4:5]
	v_mad_u64_u32 v[4:5], s[4:5], s3, v10, v[2:3]
	v_add_co_u32_e32 v0, vcc, v25, v0
	v_addc_co_u32_e32 v1, vcc, v28, v1, vcc
	v_mov_b32_e32 v7, v4
	global_store_dwordx2 v[0:1], v[8:9], off
	v_lshlrev_b64 v[0:1], 3, v[6:7]
	v_add_u32_e32 v6, 0x510, v10
	v_mad_u64_u32 v[4:5], s[4:5], s2, v6, 0
	v_add_u32_e32 v7, 0x360, v3
	v_mul_hi_u32 v8, v7, s0
	v_mov_b32_e32 v2, v5
	v_mad_u64_u32 v[5:6], s[4:5], s3, v6, v[2:3]
	v_lshrrev_b32_e32 v2, 10, v8
	v_mul_u32_u24_e32 v6, 0x510, v2
	v_sub_u32_e32 v6, v7, v6
	v_mad_u32_u24 v8, v2, s1, v6
	v_mad_u64_u32 v[6:7], s[4:5], s2, v8, 0
	v_add_co_u32_e32 v0, vcc, v25, v0
	v_addc_co_u32_e32 v1, vcc, v28, v1, vcc
	v_mov_b32_e32 v2, v7
	global_store_dwordx2 v[0:1], v[37:38], off
	v_lshlrev_b64 v[0:1], 3, v[4:5]
	v_mad_u64_u32 v[4:5], s[4:5], s3, v8, v[2:3]
	v_add_co_u32_e32 v0, vcc, v25, v0
	v_addc_co_u32_e32 v1, vcc, v28, v1, vcc
	v_mov_b32_e32 v7, v4
	global_store_dwordx2 v[0:1], v[30:31], off
	v_lshlrev_b64 v[0:1], 3, v[6:7]
	v_add_u32_e32 v6, 0x510, v8
	v_mad_u64_u32 v[4:5], s[4:5], s2, v6, 0
	v_add_co_u32_e32 v0, vcc, v25, v0
	v_mov_b32_e32 v2, v5
	v_mad_u64_u32 v[5:6], s[4:5], s3, v6, v[2:3]
	v_add_u32_e32 v2, 0x438, v3
	v_mul_hi_u32 v3, v2, s0
	v_addc_co_u32_e32 v1, vcc, v28, v1, vcc
	global_store_dwordx2 v[0:1], v[26:27], off
	v_lshrrev_b32_e32 v3, 10, v3
	v_lshlrev_b64 v[0:1], 3, v[4:5]
	v_mul_u32_u24_e32 v4, 0x510, v3
	v_sub_u32_e32 v2, v2, v4
	v_mad_u32_u24 v5, v3, s1, v2
	v_mad_u64_u32 v[2:3], s[0:1], s2, v5, 0
	v_add_u32_e32 v6, 0x510, v5
	v_add_co_u32_e32 v0, vcc, v25, v0
	v_mad_u64_u32 v[3:4], s[0:1], s3, v5, v[3:4]
	v_mad_u64_u32 v[4:5], s[0:1], s2, v6, 0
	v_addc_co_u32_e32 v1, vcc, v28, v1, vcc
	global_store_dwordx2 v[0:1], v[19:20], off
	v_lshlrev_b64 v[0:1], 3, v[2:3]
	v_mov_b32_e32 v2, v5
	v_mad_u64_u32 v[2:3], s[0:1], s3, v6, v[2:3]
	v_add_co_u32_e32 v0, vcc, v25, v0
	v_addc_co_u32_e32 v1, vcc, v28, v1, vcc
	v_mov_b32_e32 v5, v2
	global_store_dwordx2 v[0:1], v[35:36], off
	v_lshlrev_b64 v[0:1], 3, v[4:5]
	v_add_co_u32_e32 v0, vcc, v25, v0
	v_addc_co_u32_e32 v1, vcc, v28, v1, vcc
	global_store_dwordx2 v[0:1], v[33:34], off
.LBB0_15:
	s_endpgm
	.section	.rodata,"a",@progbits
	.p2align	6, 0x0
	.amdhsa_kernel fft_rtc_fwd_len2592_factors_6_6_6_6_2_wgs_216_tpt_216_halfLds_sp_op_CI_CI_sbrr_dirReg
		.amdhsa_group_segment_fixed_size 0
		.amdhsa_private_segment_fixed_size 0
		.amdhsa_kernarg_size 104
		.amdhsa_user_sgpr_count 6
		.amdhsa_user_sgpr_private_segment_buffer 1
		.amdhsa_user_sgpr_dispatch_ptr 0
		.amdhsa_user_sgpr_queue_ptr 0
		.amdhsa_user_sgpr_kernarg_segment_ptr 1
		.amdhsa_user_sgpr_dispatch_id 0
		.amdhsa_user_sgpr_flat_scratch_init 0
		.amdhsa_user_sgpr_private_segment_size 0
		.amdhsa_uses_dynamic_stack 0
		.amdhsa_system_sgpr_private_segment_wavefront_offset 0
		.amdhsa_system_sgpr_workgroup_id_x 1
		.amdhsa_system_sgpr_workgroup_id_y 0
		.amdhsa_system_sgpr_workgroup_id_z 0
		.amdhsa_system_sgpr_workgroup_info 0
		.amdhsa_system_vgpr_workitem_id 0
		.amdhsa_next_free_vgpr 63
		.amdhsa_next_free_sgpr 32
		.amdhsa_reserve_vcc 1
		.amdhsa_reserve_flat_scratch 0
		.amdhsa_float_round_mode_32 0
		.amdhsa_float_round_mode_16_64 0
		.amdhsa_float_denorm_mode_32 3
		.amdhsa_float_denorm_mode_16_64 3
		.amdhsa_dx10_clamp 1
		.amdhsa_ieee_mode 1
		.amdhsa_fp16_overflow 0
		.amdhsa_exception_fp_ieee_invalid_op 0
		.amdhsa_exception_fp_denorm_src 0
		.amdhsa_exception_fp_ieee_div_zero 0
		.amdhsa_exception_fp_ieee_overflow 0
		.amdhsa_exception_fp_ieee_underflow 0
		.amdhsa_exception_fp_ieee_inexact 0
		.amdhsa_exception_int_div_zero 0
	.end_amdhsa_kernel
	.text
.Lfunc_end0:
	.size	fft_rtc_fwd_len2592_factors_6_6_6_6_2_wgs_216_tpt_216_halfLds_sp_op_CI_CI_sbrr_dirReg, .Lfunc_end0-fft_rtc_fwd_len2592_factors_6_6_6_6_2_wgs_216_tpt_216_halfLds_sp_op_CI_CI_sbrr_dirReg
                                        ; -- End function
	.section	.AMDGPU.csdata,"",@progbits
; Kernel info:
; codeLenInByte = 7872
; NumSgprs: 36
; NumVgprs: 63
; ScratchSize: 0
; MemoryBound: 0
; FloatMode: 240
; IeeeMode: 1
; LDSByteSize: 0 bytes/workgroup (compile time only)
; SGPRBlocks: 4
; VGPRBlocks: 15
; NumSGPRsForWavesPerEU: 36
; NumVGPRsForWavesPerEU: 63
; Occupancy: 4
; WaveLimiterHint : 1
; COMPUTE_PGM_RSRC2:SCRATCH_EN: 0
; COMPUTE_PGM_RSRC2:USER_SGPR: 6
; COMPUTE_PGM_RSRC2:TRAP_HANDLER: 0
; COMPUTE_PGM_RSRC2:TGID_X_EN: 1
; COMPUTE_PGM_RSRC2:TGID_Y_EN: 0
; COMPUTE_PGM_RSRC2:TGID_Z_EN: 0
; COMPUTE_PGM_RSRC2:TIDIG_COMP_CNT: 0
	.type	__hip_cuid_ba7e2f8f001d3a7d,@object ; @__hip_cuid_ba7e2f8f001d3a7d
	.section	.bss,"aw",@nobits
	.globl	__hip_cuid_ba7e2f8f001d3a7d
__hip_cuid_ba7e2f8f001d3a7d:
	.byte	0                               ; 0x0
	.size	__hip_cuid_ba7e2f8f001d3a7d, 1

	.ident	"AMD clang version 19.0.0git (https://github.com/RadeonOpenCompute/llvm-project roc-6.4.0 25133 c7fe45cf4b819c5991fe208aaa96edf142730f1d)"
	.section	".note.GNU-stack","",@progbits
	.addrsig
	.addrsig_sym __hip_cuid_ba7e2f8f001d3a7d
	.amdgpu_metadata
---
amdhsa.kernels:
  - .args:
      - .actual_access:  read_only
        .address_space:  global
        .offset:         0
        .size:           8
        .value_kind:     global_buffer
      - .offset:         8
        .size:           8
        .value_kind:     by_value
      - .actual_access:  read_only
        .address_space:  global
        .offset:         16
        .size:           8
        .value_kind:     global_buffer
      - .actual_access:  read_only
        .address_space:  global
        .offset:         24
        .size:           8
        .value_kind:     global_buffer
      - .actual_access:  read_only
        .address_space:  global
        .offset:         32
        .size:           8
        .value_kind:     global_buffer
      - .offset:         40
        .size:           8
        .value_kind:     by_value
      - .actual_access:  read_only
        .address_space:  global
        .offset:         48
        .size:           8
        .value_kind:     global_buffer
      - .actual_access:  read_only
        .address_space:  global
        .offset:         56
        .size:           8
        .value_kind:     global_buffer
      - .offset:         64
        .size:           4
        .value_kind:     by_value
      - .actual_access:  read_only
        .address_space:  global
        .offset:         72
        .size:           8
        .value_kind:     global_buffer
      - .actual_access:  read_only
        .address_space:  global
        .offset:         80
        .size:           8
        .value_kind:     global_buffer
      - .actual_access:  read_only
        .address_space:  global
        .offset:         88
        .size:           8
        .value_kind:     global_buffer
      - .actual_access:  write_only
        .address_space:  global
        .offset:         96
        .size:           8
        .value_kind:     global_buffer
    .group_segment_fixed_size: 0
    .kernarg_segment_align: 8
    .kernarg_segment_size: 104
    .language:       OpenCL C
    .language_version:
      - 2
      - 0
    .max_flat_workgroup_size: 216
    .name:           fft_rtc_fwd_len2592_factors_6_6_6_6_2_wgs_216_tpt_216_halfLds_sp_op_CI_CI_sbrr_dirReg
    .private_segment_fixed_size: 0
    .sgpr_count:     36
    .sgpr_spill_count: 0
    .symbol:         fft_rtc_fwd_len2592_factors_6_6_6_6_2_wgs_216_tpt_216_halfLds_sp_op_CI_CI_sbrr_dirReg.kd
    .uniform_work_group_size: 1
    .uses_dynamic_stack: false
    .vgpr_count:     63
    .vgpr_spill_count: 0
    .wavefront_size: 64
amdhsa.target:   amdgcn-amd-amdhsa--gfx906
amdhsa.version:
  - 1
  - 2
...

	.end_amdgpu_metadata
